;; amdgpu-corpus repo=ROCm/rocFFT kind=compiled arch=gfx950 opt=O3
	.text
	.amdgcn_target "amdgcn-amd-amdhsa--gfx950"
	.amdhsa_code_object_version 6
	.protected	fft_rtc_back_len396_factors_11_9_4_wgs_44_tpt_44_sp_ip_CI_unitstride_sbrr_R2C_dirReg ; -- Begin function fft_rtc_back_len396_factors_11_9_4_wgs_44_tpt_44_sp_ip_CI_unitstride_sbrr_R2C_dirReg
	.globl	fft_rtc_back_len396_factors_11_9_4_wgs_44_tpt_44_sp_ip_CI_unitstride_sbrr_R2C_dirReg
	.p2align	8
	.type	fft_rtc_back_len396_factors_11_9_4_wgs_44_tpt_44_sp_ip_CI_unitstride_sbrr_R2C_dirReg,@function
fft_rtc_back_len396_factors_11_9_4_wgs_44_tpt_44_sp_ip_CI_unitstride_sbrr_R2C_dirReg: ; @fft_rtc_back_len396_factors_11_9_4_wgs_44_tpt_44_sp_ip_CI_unitstride_sbrr_R2C_dirReg
; %bb.0:
	s_load_dwordx2 s[8:9], s[0:1], 0x50
	s_load_dwordx4 s[4:7], s[0:1], 0x0
	s_load_dwordx2 s[10:11], s[0:1], 0x18
	v_mul_u32_u24_e32 v1, 0x5d2, v0
	v_add_u32_sdwa v6, s2, v1 dst_sel:DWORD dst_unused:UNUSED_PAD src0_sel:DWORD src1_sel:WORD_1
	v_mov_b32_e32 v4, 0
	s_waitcnt lgkmcnt(0)
	v_cmp_lt_u64_e64 s[2:3], s[6:7], 2
	v_mov_b32_e32 v7, v4
	s_and_b64 vcc, exec, s[2:3]
	v_mov_b64_e32 v[2:3], 0
	s_cbranch_vccnz .LBB0_8
; %bb.1:
	s_load_dwordx2 s[2:3], s[0:1], 0x10
	s_add_u32 s12, s10, 8
	s_addc_u32 s13, s11, 0
	s_mov_b64 s[14:15], 1
	v_mov_b64_e32 v[2:3], 0
	s_waitcnt lgkmcnt(0)
	s_add_u32 s16, s2, 8
	s_addc_u32 s17, s3, 0
.LBB0_2:                                ; =>This Inner Loop Header: Depth=1
	s_load_dwordx2 s[18:19], s[16:17], 0x0
                                        ; implicit-def: $vgpr8_vgpr9
	s_waitcnt lgkmcnt(0)
	v_or_b32_e32 v5, s19, v7
	v_cmp_ne_u64_e32 vcc, 0, v[4:5]
	s_and_saveexec_b64 s[2:3], vcc
	s_xor_b64 s[20:21], exec, s[2:3]
	s_cbranch_execz .LBB0_4
; %bb.3:                                ;   in Loop: Header=BB0_2 Depth=1
	v_cvt_f32_u32_e32 v1, s18
	v_cvt_f32_u32_e32 v5, s19
	s_sub_u32 s2, 0, s18
	s_subb_u32 s3, 0, s19
	v_fmac_f32_e32 v1, 0x4f800000, v5
	v_rcp_f32_e32 v1, v1
	s_nop 0
	v_mul_f32_e32 v1, 0x5f7ffffc, v1
	v_mul_f32_e32 v5, 0x2f800000, v1
	v_trunc_f32_e32 v5, v5
	v_fmac_f32_e32 v1, 0xcf800000, v5
	v_cvt_u32_f32_e32 v5, v5
	v_cvt_u32_f32_e32 v1, v1
	v_mul_lo_u32 v8, s2, v5
	v_mul_hi_u32 v10, s2, v1
	v_mul_lo_u32 v9, s3, v1
	v_add_u32_e32 v10, v10, v8
	v_mul_lo_u32 v12, s2, v1
	v_add_u32_e32 v13, v10, v9
	v_mul_hi_u32 v8, v1, v12
	v_mul_hi_u32 v11, v1, v13
	v_mul_lo_u32 v10, v1, v13
	v_mov_b32_e32 v9, v4
	v_lshl_add_u64 v[8:9], v[8:9], 0, v[10:11]
	v_mul_hi_u32 v11, v5, v12
	v_mul_lo_u32 v12, v5, v12
	v_add_co_u32_e32 v8, vcc, v8, v12
	v_mul_hi_u32 v10, v5, v13
	s_nop 0
	v_addc_co_u32_e32 v8, vcc, v9, v11, vcc
	v_mov_b32_e32 v9, v4
	s_nop 0
	v_addc_co_u32_e32 v11, vcc, 0, v10, vcc
	v_mul_lo_u32 v10, v5, v13
	v_lshl_add_u64 v[8:9], v[8:9], 0, v[10:11]
	v_add_co_u32_e32 v1, vcc, v1, v8
	v_mul_lo_u32 v10, s2, v1
	s_nop 0
	v_addc_co_u32_e32 v5, vcc, v5, v9, vcc
	v_mul_lo_u32 v8, s2, v5
	v_mul_hi_u32 v9, s2, v1
	v_add_u32_e32 v8, v9, v8
	v_mul_lo_u32 v9, s3, v1
	v_add_u32_e32 v12, v8, v9
	v_mul_hi_u32 v14, v5, v10
	v_mul_lo_u32 v15, v5, v10
	v_mul_hi_u32 v9, v1, v12
	v_mul_lo_u32 v8, v1, v12
	v_mul_hi_u32 v10, v1, v10
	v_mov_b32_e32 v11, v4
	v_lshl_add_u64 v[8:9], v[10:11], 0, v[8:9]
	v_add_co_u32_e32 v8, vcc, v8, v15
	v_mul_hi_u32 v13, v5, v12
	s_nop 0
	v_addc_co_u32_e32 v8, vcc, v9, v14, vcc
	v_mul_lo_u32 v10, v5, v12
	s_nop 0
	v_addc_co_u32_e32 v11, vcc, 0, v13, vcc
	v_mov_b32_e32 v9, v4
	v_lshl_add_u64 v[8:9], v[8:9], 0, v[10:11]
	v_add_co_u32_e32 v1, vcc, v1, v8
	v_mul_hi_u32 v10, v6, v1
	s_nop 0
	v_addc_co_u32_e32 v5, vcc, v5, v9, vcc
	v_mad_u64_u32 v[8:9], s[2:3], v6, v5, 0
	v_mov_b32_e32 v11, v4
	v_lshl_add_u64 v[8:9], v[10:11], 0, v[8:9]
	v_mad_u64_u32 v[12:13], s[2:3], v7, v1, 0
	v_add_co_u32_e32 v1, vcc, v8, v12
	v_mad_u64_u32 v[10:11], s[2:3], v7, v5, 0
	s_nop 0
	v_addc_co_u32_e32 v8, vcc, v9, v13, vcc
	v_mov_b32_e32 v9, v4
	s_nop 0
	v_addc_co_u32_e32 v11, vcc, 0, v11, vcc
	v_lshl_add_u64 v[8:9], v[8:9], 0, v[10:11]
	v_mul_lo_u32 v1, s19, v8
	v_mul_lo_u32 v5, s18, v9
	v_mad_u64_u32 v[10:11], s[2:3], s18, v8, 0
	v_add3_u32 v1, v11, v5, v1
	v_sub_u32_e32 v5, v7, v1
	v_mov_b32_e32 v11, s19
	v_sub_co_u32_e32 v14, vcc, v6, v10
	v_lshl_add_u64 v[12:13], v[8:9], 0, 1
	s_nop 0
	v_subb_co_u32_e64 v5, s[2:3], v5, v11, vcc
	v_subrev_co_u32_e64 v10, s[2:3], s18, v14
	v_subb_co_u32_e32 v1, vcc, v7, v1, vcc
	s_nop 0
	v_subbrev_co_u32_e64 v5, s[2:3], 0, v5, s[2:3]
	v_cmp_le_u32_e64 s[2:3], s19, v5
	v_cmp_le_u32_e32 vcc, s19, v1
	s_nop 0
	v_cndmask_b32_e64 v11, 0, -1, s[2:3]
	v_cmp_le_u32_e64 s[2:3], s18, v10
	s_nop 1
	v_cndmask_b32_e64 v10, 0, -1, s[2:3]
	v_cmp_eq_u32_e64 s[2:3], s19, v5
	s_nop 1
	v_cndmask_b32_e64 v5, v11, v10, s[2:3]
	v_lshl_add_u64 v[10:11], v[8:9], 0, 2
	v_cmp_ne_u32_e64 s[2:3], 0, v5
	s_nop 1
	v_cndmask_b32_e64 v5, v13, v11, s[2:3]
	v_cndmask_b32_e64 v11, 0, -1, vcc
	v_cmp_le_u32_e32 vcc, s18, v14
	s_nop 1
	v_cndmask_b32_e64 v13, 0, -1, vcc
	v_cmp_eq_u32_e32 vcc, s19, v1
	s_nop 1
	v_cndmask_b32_e32 v1, v11, v13, vcc
	v_cmp_ne_u32_e32 vcc, 0, v1
	v_cndmask_b32_e64 v1, v12, v10, s[2:3]
	s_nop 0
	v_cndmask_b32_e32 v9, v9, v5, vcc
	v_cndmask_b32_e32 v8, v8, v1, vcc
.LBB0_4:                                ;   in Loop: Header=BB0_2 Depth=1
	s_andn2_saveexec_b64 s[2:3], s[20:21]
	s_cbranch_execz .LBB0_6
; %bb.5:                                ;   in Loop: Header=BB0_2 Depth=1
	v_cvt_f32_u32_e32 v1, s18
	s_sub_i32 s20, 0, s18
	v_rcp_iflag_f32_e32 v1, v1
	s_nop 0
	v_mul_f32_e32 v1, 0x4f7ffffe, v1
	v_cvt_u32_f32_e32 v1, v1
	v_mul_lo_u32 v5, s20, v1
	v_mul_hi_u32 v5, v1, v5
	v_add_u32_e32 v1, v1, v5
	v_mul_hi_u32 v1, v6, v1
	v_mul_lo_u32 v5, v1, s18
	v_sub_u32_e32 v5, v6, v5
	v_add_u32_e32 v8, 1, v1
	v_subrev_u32_e32 v9, s18, v5
	v_cmp_le_u32_e32 vcc, s18, v5
	s_nop 1
	v_cndmask_b32_e32 v5, v5, v9, vcc
	v_cndmask_b32_e32 v1, v1, v8, vcc
	v_add_u32_e32 v8, 1, v1
	v_cmp_le_u32_e32 vcc, s18, v5
	v_mov_b32_e32 v9, v4
	s_nop 0
	v_cndmask_b32_e32 v8, v1, v8, vcc
.LBB0_6:                                ;   in Loop: Header=BB0_2 Depth=1
	s_or_b64 exec, exec, s[2:3]
	v_mad_u64_u32 v[10:11], s[2:3], v8, s18, 0
	s_load_dwordx2 s[2:3], s[12:13], 0x0
	v_mul_lo_u32 v1, v9, s18
	v_mul_lo_u32 v5, v8, s19
	v_add3_u32 v1, v11, v5, v1
	v_sub_co_u32_e32 v5, vcc, v6, v10
	s_add_u32 s14, s14, 1
	s_nop 0
	v_subb_co_u32_e32 v1, vcc, v7, v1, vcc
	s_addc_u32 s15, s15, 0
	s_waitcnt lgkmcnt(0)
	v_mul_lo_u32 v1, s2, v1
	v_mul_lo_u32 v6, s3, v5
	v_mad_u64_u32 v[2:3], s[2:3], s2, v5, v[2:3]
	s_add_u32 s12, s12, 8
	v_add3_u32 v3, v6, v3, v1
	s_addc_u32 s13, s13, 0
	v_mov_b64_e32 v[6:7], s[6:7]
	s_add_u32 s16, s16, 8
	v_cmp_ge_u64_e32 vcc, s[14:15], v[6:7]
	s_addc_u32 s17, s17, 0
	s_cbranch_vccnz .LBB0_9
; %bb.7:                                ;   in Loop: Header=BB0_2 Depth=1
	v_mov_b64_e32 v[6:7], v[8:9]
	s_branch .LBB0_2
.LBB0_8:
	v_mov_b64_e32 v[8:9], v[6:7]
.LBB0_9:
	s_lshl_b64 s[2:3], s[6:7], 3
	s_add_u32 s2, s10, s2
	s_addc_u32 s3, s11, s3
	s_load_dwordx2 s[6:7], s[2:3], 0x0
	s_load_dwordx2 s[10:11], s[0:1], 0x20
	s_waitcnt lgkmcnt(0)
	v_mad_u64_u32 v[2:3], s[0:1], s6, v8, v[2:3]
	v_mul_lo_u32 v1, s6, v9
	v_mul_lo_u32 v4, s7, v8
	s_mov_b32 s0, 0x5d1745e
	v_add3_u32 v3, v4, v3, v1
	v_mul_hi_u32 v1, v0, s0
	v_mul_u32_u24_e32 v1, 44, v1
	v_sub_u32_e32 v28, v0, v1
	v_cmp_gt_u64_e32 vcc, s[10:11], v[8:9]
	v_lshl_add_u64 v[26:27], v[2:3], 3, s[8:9]
	v_lshl_add_u32 v100, v28, 3, 0
	s_and_saveexec_b64 s[0:1], vcc
	s_cbranch_execz .LBB0_11
; %bb.10:
	v_mov_b32_e32 v29, 0
	v_lshl_add_u64 v[0:1], v[28:29], 3, v[26:27]
	global_load_dwordx2 v[2:3], v[0:1], off
	global_load_dwordx2 v[4:5], v[0:1], off offset:352
	global_load_dwordx2 v[6:7], v[0:1], off offset:704
	;; [unrolled: 1-line block ×8, first 2 shown]
	v_add_u32_e32 v0, 0x800, v100
	s_waitcnt vmcnt(7)
	ds_write2_b64 v100, v[2:3], v[4:5] offset1:44
	s_waitcnt vmcnt(5)
	ds_write2_b64 v100, v[6:7], v[8:9] offset0:88 offset1:132
	s_waitcnt vmcnt(3)
	ds_write2_b64 v100, v[10:11], v[12:13] offset0:176 offset1:220
	;; [unrolled: 2-line block ×3, first 2 shown]
	s_waitcnt vmcnt(0)
	ds_write_b64 v100, v[18:19] offset:2816
.LBB0_11:
	s_or_b64 exec, exec, s[0:1]
	s_waitcnt lgkmcnt(0)
	; wave barrier
	s_waitcnt lgkmcnt(0)
	ds_read2_b64 v[6:9], v100 offset1:36
	ds_read2_b64 v[10:13], v100 offset0:72 offset1:108
	ds_read_b64 v[46:47], v100 offset:2880
	v_add_u32_e32 v29, 0x800, v100
	ds_read2_b64 v[14:17], v29 offset0:32 offset1:68
	s_mov_b32 s2, 0x3f575c64
	s_mov_b32 s3, 0xbf0a6770
	s_waitcnt lgkmcnt(1)
	v_pk_add_f32 v[32:33], v[46:47], v[8:9]
	v_pk_add_f32 v[34:35], v[8:9], v[46:47] neg_lo:[0,1] neg_hi:[0,1]
	s_waitcnt lgkmcnt(0)
	v_pk_add_f32 v[30:31], v[16:17], v[10:11]
	v_pk_add_f32 v[36:37], v[10:11], v[16:17] neg_lo:[0,1] neg_hi:[0,1]
	v_mov_b32_e32 v2, v35
	v_mov_b32_e32 v3, v33
	s_mov_b32 s0, s3
	s_mov_b32 s1, s2
	;; [unrolled: 1-line block ×3, first 2 shown]
	v_pk_mul_f32 v[54:55], v[2:3], s[0:1]
	v_mov_b32_e32 v50, v32
	v_mov_b32_e32 v51, v34
	;; [unrolled: 1-line block ×4, first 2 shown]
	s_mov_b32 s0, 0xbf68dda4
	s_mov_b32 s1, s6
	v_pk_fma_f32 v[48:49], v[50:51], s[2:3], v[54:55]
	v_pk_fma_f32 v[4:5], v[50:51], s[2:3], v[54:55] neg_lo:[0,0,1] neg_hi:[0,0,1]
	v_pk_mul_f32 v[60:61], v[44:45], s[0:1]
	v_mov_b32_e32 v58, v30
	v_mov_b32_e32 v59, v36
	s_mov_b32 s7, s0
	v_mov_b32_e32 v5, v49
	v_pk_fma_f32 v[56:57], v[58:59], s[6:7], v[60:61]
	v_pk_fma_f32 v[18:19], v[58:59], s[6:7], v[60:61] neg_lo:[0,0,1] neg_hi:[0,0,1]
	v_pk_add_f32 v[4:5], v[6:7], v[4:5]
	v_mov_b32_e32 v19, v57
	s_mov_b32 s8, 0xbe11bafb
	v_pk_add_f32 v[0:1], v[14:15], v[12:13]
	v_pk_add_f32 v[38:39], v[12:13], v[14:15] neg_lo:[0,1] neg_hi:[0,1]
	v_pk_add_f32 v[4:5], v[18:19], v[4:5]
	s_mov_b32 s9, 0xbf7d64f0
	ds_read2_b64 v[22:25], v100 offset0:144 offset1:180
	ds_read2_b64 v[18:21], v100 offset0:216 offset1:252
	v_mov_b32_e32 v52, v39
	v_mov_b32_e32 v53, v1
	s_mov_b32 s10, s9
	s_mov_b32 s11, s8
	v_pk_mul_f32 v[62:63], v[52:53], s[10:11]
	v_mov_b32_e32 v66, v0
	v_mov_b32_e32 v67, v38
	v_pk_fma_f32 v[64:65], v[66:67], s[8:9], v[62:63]
	v_pk_fma_f32 v[40:41], v[66:67], s[8:9], v[62:63] neg_lo:[0,0,1] neg_hi:[0,0,1]
	s_mov_b32 s10, 0xbf27a4f4
	v_mov_b32_e32 v41, v65
	v_pk_add_f32 v[4:5], v[40:41], v[4:5]
	s_waitcnt lgkmcnt(0)
	v_pk_add_f32 v[40:41], v[20:21], v[22:23]
	v_pk_add_f32 v[42:43], v[22:23], v[20:21] neg_lo:[0,1] neg_hi:[0,1]
	s_mov_b32 s11, 0xbf4178ce
	v_mov_b32_e32 v86, v43
	v_mov_b32_e32 v87, v41
	s_mov_b32 s12, s11
	s_mov_b32 s13, s10
	v_mov_b32_e32 v80, v40
	v_mov_b32_e32 v81, v42
	v_pk_mul_f32 v[68:69], v[86:87], s[12:13]
	v_pk_mul_f32 v[74:75], v[2:3], s[0:1]
	v_pk_fma_f32 v[70:71], v[80:81], s[10:11], v[68:69]
	v_pk_fma_f32 v[72:73], v[80:81], s[10:11], v[68:69] neg_lo:[0,0,1] neg_hi:[0,0,1]
	v_pk_fma_f32 v[2:3], v[50:51], s[6:7], v[74:75] neg_lo:[0,0,1] neg_hi:[0,0,1]
	v_mov_b32_e32 v73, v71
	v_pk_add_f32 v[4:5], v[72:73], v[4:5]
	v_pk_fma_f32 v[72:73], v[50:51], s[6:7], v[74:75]
	v_pk_mul_f32 v[78:79], v[44:45], s[12:13]
	s_mov_b32 s14, 0xbf75a155
	s_mov_b32 s21, 0x3e903f40
	v_mov_b32_e32 v3, v73
	v_pk_fma_f32 v[44:45], v[58:59], s[10:11], v[78:79] neg_lo:[0,0,1] neg_hi:[0,0,1]
	v_pk_fma_f32 v[76:77], v[58:59], s[10:11], v[78:79]
	s_mov_b32 s15, 0xbe903f40
	s_mov_b32 s0, s21
	;; [unrolled: 1-line block ×3, first 2 shown]
	v_mov_b32_e32 v45, v77
	v_pk_add_f32 v[2:3], v[6:7], v[2:3]
	v_pk_mul_f32 v[82:83], v[52:53], s[0:1]
	s_mov_b32 s20, s14
	s_mov_b32 s19, 0x3f7d64f0
	v_pk_add_f32 v[2:3], v[44:45], v[2:3]
	v_pk_fma_f32 v[44:45], v[66:67], s[20:21], v[82:83] neg_lo:[0,0,1] neg_hi:[0,0,1]
	v_pk_fma_f32 v[84:85], v[66:67], s[20:21], v[82:83]
	s_mov_b32 s0, s19
	s_mov_b32 s1, s8
	v_mov_b32_e32 v45, v85
	v_pk_mul_f32 v[86:87], v[86:87], s[0:1]
	s_mov_b32 s18, s8
	v_pk_add_f32 v[2:3], v[44:45], v[2:3]
	v_pk_fma_f32 v[44:45], v[80:81], s[18:19], v[86:87] neg_lo:[0,0,1] neg_hi:[0,0,1]
	v_pk_fma_f32 v[88:89], v[80:81], s[18:19], v[86:87]
	v_pk_add_f32 v[52:53], v[24:25], v[18:19] neg_lo:[0,1] neg_hi:[0,1]
	v_mov_b32_e32 v45, v89
	v_pk_add_f32 v[2:3], v[44:45], v[2:3]
	v_pk_add_f32 v[44:45], v[18:19], v[24:25]
	v_mov_b32_e32 v90, v53
	v_mov_b32_e32 v91, v45
	s_mov_b32 s0, s15
	s_mov_b32 s1, s14
	v_mov_b32_e32 v98, v44
	v_mov_b32_e32 v99, v52
	v_pk_mul_f32 v[96:97], v[90:91], s[0:1]
	s_mov_b32 s17, 0x3f0a6770
	v_pk_fma_f32 v[94:95], v[98:99], s[14:15], v[96:97]
	v_pk_fma_f32 v[92:93], v[98:99], s[14:15], v[96:97] neg_lo:[0,0,1] neg_hi:[0,0,1]
	s_mov_b32 s0, s17
	s_mov_b32 s1, s2
	v_mov_b32_e32 v93, v95
	v_pk_mul_f32 v[90:91], v[90:91], s[0:1]
	s_mov_b32 s16, s2
	v_pk_add_f32 v[4:5], v[92:93], v[4:5]
	v_pk_fma_f32 v[102:103], v[98:99], s[16:17], v[90:91] neg_lo:[0,0,1] neg_hi:[0,0,1]
	v_pk_fma_f32 v[92:93], v[98:99], s[16:17], v[90:91]
	v_cmp_gt_u32_e64 s[0:1], 36, v28
	v_mov_b32_e32 v103, v93
	v_pk_add_f32 v[2:3], v[102:103], v[2:3]
	s_waitcnt lgkmcnt(0)
	; wave barrier
	s_and_saveexec_b64 s[12:13], s[0:1]
	s_cbranch_execz .LBB0_13
; %bb.12:
	v_pk_add_f32 v[8:9], v[6:7], v[8:9]
	s_mov_b32 s0, s9
	v_pk_add_f32 v[8:9], v[8:9], v[10:11]
	v_pk_mul_f32 v[10:11], v[50:51], s[2:3]
	v_pk_add_f32 v[8:9], v[8:9], v[12:13]
	v_pk_mul_f32 v[12:13], v[58:59], s[6:7]
	v_pk_add_f32 v[8:9], v[8:9], v[22:23]
	v_pk_add_f32 v[10:11], v[54:55], v[10:11] neg_lo:[0,1] neg_hi:[0,1]
	v_pk_add_f32 v[8:9], v[8:9], v[24:25]
	v_mov_b32_e32 v49, v11
	v_pk_add_f32 v[8:9], v[8:9], v[18:19]
	v_pk_add_f32 v[12:13], v[60:61], v[12:13] neg_lo:[0,1] neg_hi:[0,1]
	v_pk_add_f32 v[8:9], v[8:9], v[20:21]
	v_pk_mul_f32 v[10:11], v[80:81], s[10:11]
	v_pk_add_f32 v[8:9], v[8:9], v[14:15]
	v_pk_mul_f32 v[14:15], v[66:67], s[8:9]
	v_mov_b32_e32 v57, v13
	v_pk_add_f32 v[48:49], v[6:7], v[48:49]
	v_pk_add_f32 v[14:15], v[62:63], v[14:15] neg_lo:[0,1] neg_hi:[0,1]
	v_pk_add_f32 v[8:9], v[8:9], v[16:17]
	v_pk_mul_f32 v[16:17], v[98:99], s[14:15]
	v_pk_add_f32 v[48:49], v[56:57], v[48:49]
	v_mov_b32_e32 v65, v15
	v_pk_add_f32 v[10:11], v[68:69], v[10:11] neg_lo:[0,1] neg_hi:[0,1]
	v_pk_add_f32 v[48:49], v[64:65], v[48:49]
	v_mov_b32_e32 v71, v11
	v_pk_add_f32 v[16:17], v[96:97], v[16:17] neg_lo:[0,1] neg_hi:[0,1]
	v_pk_mul_f32 v[12:13], v[34:35], s[0:1] op_sel_hi:[1,0]
	s_movk_i32 s1, 0x50
	v_pk_add_f32 v[10:11], v[70:71], v[48:49]
	v_mov_b32_e32 v95, v17
	v_pk_add_f32 v[8:9], v[8:9], v[46:47]
	v_pk_mul_f32 v[20:21], v[58:59], s[10:11]
	v_pk_mul_f32 v[24:25], v[80:81], s[18:19]
	v_mad_u32_u24 v80, v28, s1, v100
	v_pk_add_f32 v[10:11], v[94:95], v[10:11]
	v_pk_mul_f32 v[22:23], v[66:67], s[20:21]
	ds_write2_b64 v80, v[8:9], v[10:11] offset1:1
	v_pk_add_f32 v[10:11], v[78:79], v[20:21] neg_lo:[0,1] neg_hi:[0,1]
	v_pk_mul_f32 v[46:47], v[98:99], s[16:17]
	v_mov_b32_e32 v77, v11
	v_pk_add_f32 v[10:11], v[82:83], v[22:23] neg_lo:[0,1] neg_hi:[0,1]
	s_mov_b32 s16, s21
	v_mov_b32_e32 v85, v11
	v_pk_add_f32 v[10:11], v[86:87], v[24:25] neg_lo:[0,1] neg_hi:[0,1]
	v_pk_mul_f32 v[18:19], v[50:51], s[6:7]
	v_mov_b32_e32 v89, v11
	v_pk_add_f32 v[10:11], v[90:91], v[46:47] neg_lo:[0,1] neg_hi:[0,1]
	v_pk_mul_f32 v[50:51], v[36:37], s[16:17] op_sel_hi:[1,0]
	v_mov_b32_e32 v93, v11
	v_pk_fma_f32 v[10:11], v[32:33], s[8:9], v[12:13] op_sel:[0,0,1] op_sel_hi:[1,0,0]
	v_pk_fma_f32 v[12:13], v[32:33], s[8:9], v[12:13] op_sel:[0,0,1] op_sel_hi:[1,0,0] neg_lo:[0,0,1] neg_hi:[0,0,1]
	s_mov_b32 s16, 0x3f68dda4
	v_pk_add_f32 v[8:9], v[74:75], v[18:19] neg_lo:[0,1] neg_hi:[0,1]
	v_mov_b32_e32 v16, v10
	v_mov_b32_e32 v17, v13
	v_pk_fma_f32 v[18:19], v[30:31], s[14:15], v[50:51] op_sel:[0,0,1] op_sel_hi:[1,0,0]
	v_pk_fma_f32 v[20:21], v[30:31], s[14:15], v[50:51] op_sel:[0,0,1] op_sel_hi:[1,0,0] neg_lo:[0,0,1] neg_hi:[0,0,1]
	v_pk_mul_f32 v[54:55], v[38:39], s[16:17] op_sel_hi:[1,0]
	v_pk_add_f32 v[16:17], v[6:7], v[16:17]
	v_mov_b32_e32 v22, v18
	v_mov_b32_e32 v23, v21
	s_mov_b32 s20, s3
	v_pk_add_f32 v[16:17], v[22:23], v[16:17]
	v_pk_fma_f32 v[22:23], v[0:1], s[6:7], v[54:55] op_sel:[0,0,1] op_sel_hi:[1,0,0]
	v_pk_fma_f32 v[24:25], v[0:1], s[6:7], v[54:55] op_sel:[0,0,1] op_sel_hi:[1,0,0] neg_lo:[0,0,1] neg_hi:[0,0,1]
	v_pk_mul_f32 v[14:15], v[42:43], s[20:21] op_sel_hi:[1,0]
	v_mov_b32_e32 v73, v9
	v_mov_b32_e32 v46, v22
	;; [unrolled: 1-line block ×3, first 2 shown]
	s_mov_b32 s18, s11
	v_pk_add_f32 v[8:9], v[6:7], v[72:73]
	v_pk_add_f32 v[16:17], v[46:47], v[16:17]
	v_pk_fma_f32 v[46:47], v[40:41], s[2:3], v[14:15] op_sel:[0,0,1] op_sel_hi:[1,0,0]
	v_pk_fma_f32 v[14:15], v[40:41], s[2:3], v[14:15] op_sel:[0,0,1] op_sel_hi:[1,0,0] neg_lo:[0,0,1] neg_hi:[0,0,1]
	v_pk_mul_f32 v[56:57], v[52:53], s[18:19] op_sel_hi:[1,0]
	v_pk_add_f32 v[8:9], v[76:77], v[8:9]
	v_mov_b32_e32 v48, v46
	v_mov_b32_e32 v49, v15
	v_pk_add_f32 v[8:9], v[84:85], v[8:9]
	v_pk_add_f32 v[16:17], v[48:49], v[16:17]
	v_pk_fma_f32 v[48:49], v[44:45], s[10:11], v[56:57] op_sel:[0,0,1] op_sel_hi:[1,0,0]
	v_pk_fma_f32 v[50:51], v[44:45], s[10:11], v[56:57] op_sel:[0,0,1] op_sel_hi:[1,0,0] neg_lo:[0,0,1] neg_hi:[0,0,1]
	v_pk_add_f32 v[8:9], v[88:89], v[8:9]
	v_mov_b32_e32 v54, v48
	v_mov_b32_e32 v55, v51
	v_pk_add_f32 v[8:9], v[92:93], v[8:9]
	v_pk_add_f32 v[16:17], v[54:55], v[16:17]
	ds_write2_b64 v80, v[8:9], v[16:17] offset0:2 offset1:3
	v_pk_mul_f32 v[8:9], v[34:35], s[18:19] op_sel_hi:[1,0]
	s_mov_b32 s22, s19
	v_pk_fma_f32 v[16:17], v[32:33], s[10:11], v[8:9] op_sel:[0,0,1] op_sel_hi:[1,0,0]
	v_pk_fma_f32 v[8:9], v[32:33], s[10:11], v[8:9] op_sel:[0,0,1] op_sel_hi:[1,0,0] neg_lo:[0,0,1] neg_hi:[0,0,1]
	v_pk_mul_f32 v[56:57], v[36:37], s[22:23] op_sel_hi:[1,0]
	v_mov_b32_e32 v54, v16
	v_mov_b32_e32 v55, v9
	v_pk_fma_f32 v[58:59], v[30:31], s[8:9], v[56:57] op_sel:[0,0,1] op_sel_hi:[1,0,0]
	v_pk_fma_f32 v[56:57], v[30:31], s[8:9], v[56:57] op_sel:[0,0,1] op_sel_hi:[1,0,0] neg_lo:[0,0,1] neg_hi:[0,0,1]
	v_pk_add_f32 v[54:55], v[6:7], v[54:55]
	v_mov_b32_e32 v60, v58
	v_mov_b32_e32 v61, v57
	v_pk_add_f32 v[54:55], v[60:61], v[54:55]
	v_pk_mul_f32 v[60:61], v[38:39], s[20:21] op_sel_hi:[1,0]
	s_mov_b32 s20, s15
	v_pk_fma_f32 v[62:63], v[0:1], s[2:3], v[60:61] op_sel:[0,0,1] op_sel_hi:[1,0,0]
	v_pk_fma_f32 v[60:61], v[0:1], s[2:3], v[60:61] op_sel:[0,0,1] op_sel_hi:[1,0,0] neg_lo:[0,0,1] neg_hi:[0,0,1]
	v_mov_b32_e32 v64, v62
	v_mov_b32_e32 v65, v61
	v_pk_add_f32 v[54:55], v[64:65], v[54:55]
	v_pk_mul_f32 v[64:65], v[42:43], s[20:21] op_sel_hi:[1,0]
	v_pk_mul_f32 v[34:35], v[34:35], s[20:21] op_sel_hi:[1,0]
	v_pk_fma_f32 v[66:67], v[40:41], s[14:15], v[64:65] op_sel:[0,0,1] op_sel_hi:[1,0,0]
	v_pk_fma_f32 v[64:65], v[40:41], s[14:15], v[64:65] op_sel:[0,0,1] op_sel_hi:[1,0,0] neg_lo:[0,0,1] neg_hi:[0,0,1]
	v_mov_b32_e32 v68, v66
	v_mov_b32_e32 v69, v65
	v_pk_add_f32 v[54:55], v[68:69], v[54:55]
	v_pk_mul_f32 v[68:69], v[52:53], s[16:17] op_sel_hi:[1,0]
	s_mov_b32 s20, s17
	v_pk_fma_f32 v[70:71], v[44:45], s[6:7], v[68:69] op_sel:[0,0,1] op_sel_hi:[1,0,0]
	v_pk_fma_f32 v[68:69], v[44:45], s[6:7], v[68:69] op_sel:[0,0,1] op_sel_hi:[1,0,0] neg_lo:[0,0,1] neg_hi:[0,0,1]
	v_mov_b32_e32 v72, v70
	v_mov_b32_e32 v73, v69
	v_pk_add_f32 v[54:55], v[72:73], v[54:55]
	v_pk_mul_f32 v[36:37], v[36:37], s[20:21] op_sel_hi:[1,0]
	v_pk_fma_f32 v[72:73], v[32:33], s[14:15], v[34:35] op_sel:[0,0,1] op_sel_hi:[1,0,0]
	v_pk_fma_f32 v[32:33], v[32:33], s[14:15], v[34:35] op_sel:[0,0,1] op_sel_hi:[1,0,0] neg_lo:[0,0,1] neg_hi:[0,0,1]
	v_mov_b32_e32 v34, v72
	v_mov_b32_e32 v35, v33
	v_pk_fma_f32 v[74:75], v[30:31], s[2:3], v[36:37] op_sel:[0,0,1] op_sel_hi:[1,0,0]
	v_pk_fma_f32 v[30:31], v[30:31], s[2:3], v[36:37] op_sel:[0,0,1] op_sel_hi:[1,0,0] neg_lo:[0,0,1] neg_hi:[0,0,1]
	v_pk_mul_f32 v[38:39], v[38:39], s[18:19] op_sel_hi:[1,0]
	v_pk_add_f32 v[34:35], v[6:7], v[34:35]
	v_mov_b32_e32 v36, v74
	v_mov_b32_e32 v37, v31
	v_pk_add_f32 v[34:35], v[36:37], v[34:35]
	v_pk_fma_f32 v[36:37], v[0:1], s[10:11], v[38:39] op_sel:[0,0,1] op_sel_hi:[1,0,0]
	v_pk_fma_f32 v[0:1], v[0:1], s[10:11], v[38:39] op_sel:[0,0,1] op_sel_hi:[1,0,0] neg_lo:[0,0,1] neg_hi:[0,0,1]
	v_pk_mul_f32 v[42:43], v[42:43], s[16:17] op_sel_hi:[1,0]
	v_mov_b32_e32 v38, v36
	v_mov_b32_e32 v39, v1
	;; [unrolled: 1-line block ×4, first 2 shown]
	v_pk_add_f32 v[34:35], v[38:39], v[34:35]
	v_pk_fma_f32 v[38:39], v[40:41], s[6:7], v[42:43] op_sel:[0,0,1] op_sel_hi:[1,0,0]
	v_pk_fma_f32 v[40:41], v[40:41], s[6:7], v[42:43] op_sel:[0,0,1] op_sel_hi:[1,0,0] neg_lo:[0,0,1] neg_hi:[0,0,1]
	v_pk_add_f32 v[32:33], v[6:7], v[32:33]
	v_mov_b32_e32 v31, v75
	v_pk_add_f32 v[8:9], v[6:7], v[8:9]
	v_mov_b32_e32 v57, v59
	v_pk_mul_f32 v[52:53], v[52:53], s[0:1] op_sel_hi:[1,0]
	v_mov_b32_e32 v42, v38
	v_mov_b32_e32 v43, v41
	v_pk_add_f32 v[30:31], v[30:31], v[32:33]
	v_mov_b32_e32 v1, v37
	v_pk_add_f32 v[8:9], v[56:57], v[8:9]
	;; [unrolled: 2-line block ×3, first 2 shown]
	v_pk_fma_f32 v[42:43], v[44:45], s[8:9], v[52:53] op_sel:[0,0,1] op_sel_hi:[1,0,0]
	v_pk_fma_f32 v[44:45], v[44:45], s[8:9], v[52:53] op_sel:[0,0,1] op_sel_hi:[1,0,0] neg_lo:[0,0,1] neg_hi:[0,0,1]
	v_pk_add_f32 v[0:1], v[0:1], v[30:31]
	v_mov_b32_e32 v41, v39
	v_pk_add_f32 v[8:9], v[60:61], v[8:9]
	v_mov_b32_e32 v65, v67
	v_mov_b32_e32 v53, v45
	v_pk_add_f32 v[0:1], v[40:41], v[0:1]
	v_mov_b32_e32 v45, v43
	v_pk_add_f32 v[8:9], v[64:65], v[8:9]
	;; [unrolled: 2-line block ×3, first 2 shown]
	v_pk_add_f32 v[8:9], v[68:69], v[8:9]
	v_mov_b32_e32 v13, v11
	ds_write2_b64 v80, v[0:1], v[8:9] offset0:6 offset1:7
	v_pk_add_f32 v[0:1], v[6:7], v[12:13]
	v_mov_b32_e32 v21, v19
	v_pk_add_f32 v[0:1], v[20:21], v[0:1]
	v_mov_b32_e32 v25, v23
	;; [unrolled: 2-line block ×3, first 2 shown]
	v_mov_b32_e32 v52, v42
	v_pk_add_f32 v[0:1], v[14:15], v[0:1]
	v_mov_b32_e32 v51, v49
	v_pk_add_f32 v[34:35], v[52:53], v[34:35]
	v_pk_add_f32 v[0:1], v[50:51], v[0:1]
	ds_write2_b64 v80, v[54:55], v[34:35] offset0:4 offset1:5
	ds_write2_b64 v80, v[0:1], v[2:3] offset0:8 offset1:9
	ds_write_b64 v80, v[4:5] offset:80
.LBB0_13:
	s_or_b64 exec, exec, s[12:13]
	s_movk_i32 s0, 0x75
	v_mul_lo_u16_sdwa v0, v28, s0 dst_sel:DWORD dst_unused:UNUSED_PAD src0_sel:BYTE_0 src1_sel:DWORD
	v_sub_u16_sdwa v1, v28, v0 dst_sel:DWORD dst_unused:UNUSED_PAD src0_sel:DWORD src1_sel:BYTE_1
	v_lshrrev_b16_e32 v1, 1, v1
	v_and_b32_e32 v1, 0x7f, v1
	v_add_u16_sdwa v0, v1, v0 dst_sel:DWORD dst_unused:UNUSED_PAD src0_sel:DWORD src1_sel:BYTE_1
	v_lshrrev_b16_e32 v42, 3, v0
	v_mul_lo_u16_e32 v0, 11, v42
	v_sub_u16_e32 v43, v28, v0
	v_mov_b32_e32 v0, 6
	v_lshlrev_b32_sdwa v0, v0, v43 dst_sel:DWORD dst_unused:UNUSED_PAD src0_sel:DWORD src1_sel:BYTE_0
	s_waitcnt lgkmcnt(0)
	; wave barrier
	s_waitcnt lgkmcnt(0)
	global_load_dwordx4 v[6:9], v0, s[4:5] offset:16
	global_load_dwordx4 v[10:13], v0, s[4:5] offset:32
	global_load_dwordx4 v[14:17], v0, s[4:5]
	global_load_dwordx4 v[18:21], v0, s[4:5] offset:48
	ds_read2_b64 v[22:25], v100 offset1:44
	ds_read2_b64 v[30:33], v100 offset0:88 offset1:132
	ds_read2_b64 v[34:37], v100 offset0:176 offset1:220
	;; [unrolled: 1-line block ×3, first 2 shown]
	ds_read_b64 v[0:1], v100 offset:2816
	v_mov_b32_e32 v44, 3
	v_mul_u32_u24_e32 v42, 0x318, v42
	v_lshlrev_b32_sdwa v43, v44, v43 dst_sel:DWORD dst_unused:UNUSED_PAD src0_sel:DWORD src1_sel:BYTE_0
	v_add3_u32 v59, 0, v42, v43
	s_mov_b32 s12, 0x3f248dbb
	s_mov_b32 s13, 0x3f7c1c5c
	;; [unrolled: 1-line block ×9, first 2 shown]
	s_waitcnt lgkmcnt(0)
	; wave barrier
	s_waitcnt vmcnt(3) lgkmcnt(0)
	v_mul_f32_e32 v42, v7, v33
	v_mul_f32_e32 v7, v7, v32
	s_waitcnt vmcnt(2)
	v_mov_b32_e32 v44, v13
	v_pk_mul_f32 v[46:47], v[38:39], v[12:13] op_sel:[1,0] op_sel_hi:[0,1]
	s_waitcnt vmcnt(1)
	v_pk_mul_f32 v[48:49], v[14:15], v[24:25] op_sel:[0,1]
	v_pk_mul_f32 v[50:51], v[16:17], v[30:31] op_sel:[0,1]
	;; [unrolled: 1-line block ×4, first 2 shown]
	s_waitcnt vmcnt(0)
	v_pk_mul_f32 v[56:57], v[40:41], v[18:19] op_sel:[0,1]
	v_mov_b32_e32 v58, v21
	v_fmac_f32_e32 v42, v6, v32
	v_fma_f32 v43, v6, v33, -v7
	v_pk_mul_f32 v[6:7], v[38:39], v[44:45] op_sel:[1,0] op_sel_hi:[0,1]
	v_mov_b32_e32 v33, v46
	v_pk_fma_f32 v[44:45], v[14:15], v[24:25], v[48:49] op_sel:[0,0,1] op_sel_hi:[1,1,0]
	v_pk_fma_f32 v[14:15], v[14:15], v[24:25], v[48:49] op_sel:[0,0,1] op_sel_hi:[1,0,0] neg_lo:[1,0,0] neg_hi:[1,0,0]
	v_pk_fma_f32 v[24:25], v[16:17], v[30:31], v[50:51] op_sel:[0,0,1] op_sel_hi:[1,1,0]
	v_pk_fma_f32 v[16:17], v[16:17], v[30:31], v[50:51] op_sel:[0,0,1] op_sel_hi:[1,0,0] neg_lo:[1,0,0] neg_hi:[1,0,0]
	;; [unrolled: 2-line block ×5, first 2 shown]
	v_pk_mul_f32 v[40:41], v[0:1], v[58:59] op_sel_hi:[1,0]
	v_pk_fma_f32 v[6:7], v[38:39], v[12:13], v[6:7]
	v_pk_fma_f32 v[12:13], v[38:39], v[12:13], v[32:33] op_sel:[1,0,0] op_sel_hi:[0,1,1] neg_lo:[1,0,0] neg_hi:[1,0,0]
	v_mov_b32_e32 v45, v15
	v_pk_fma_f32 v[14:15], v[0:1], v[20:21], v[40:41] op_sel:[0,0,1] op_sel_hi:[1,1,0]
	v_pk_fma_f32 v[0:1], v[0:1], v[20:21], v[40:41] op_sel:[0,0,1] op_sel_hi:[1,0,0] neg_lo:[0,0,1] neg_hi:[0,0,1]
	v_mov_b32_e32 v25, v17
	v_mov_b32_e32 v31, v9
	;; [unrolled: 1-line block ×10, first 2 shown]
	v_pk_add_f32 v[16:17], v[8:9], v[10:11] neg_lo:[0,1] neg_hi:[0,1]
	v_pk_add_f32 v[8:9], v[8:9], v[10:11]
	v_pk_add_f32 v[10:11], v[24:25], v[36:37] neg_lo:[0,1] neg_hi:[0,1]
	v_pk_add_f32 v[18:19], v[42:43], v[6:7]
	;; [unrolled: 2-line block ×4, first 2 shown]
	v_mov_b32_e32 v24, v11
	v_mov_b32_e32 v25, v14
	;; [unrolled: 1-line block ×3, first 2 shown]
	v_pk_mul_f32 v[32:33], v[0:1], s[0:1] op_sel_hi:[1,0]
	v_mov_b32_e32 v20, v15
	v_pk_fma_f32 v[0:1], v[6:7], s[2:3], v[22:23] op_sel_hi:[1,0,1]
	v_pk_mul_f32 v[24:25], v[24:25], s[14:15]
	v_pk_add_f32 v[36:37], v[12:13], v[6:7]
	v_pk_fma_f32 v[20:21], v[20:21], s[12:13], v[24:25]
	v_pk_fma_f32 v[0:1], v[12:13], s[8:9], v[0:1] op_sel_hi:[1,0,1]
	v_pk_add_f32 v[38:39], v[18:19], v[36:37]
	v_pk_add_f32 v[20:21], v[32:33], v[20:21] op_sel:[1,0] op_sel_hi:[0,1]
	v_pk_fma_f32 v[0:1], v[18:19], 0.5, v[0:1] op_sel_hi:[1,0,1] neg_lo:[1,0,0] neg_hi:[1,0,0]
	v_pk_add_f32 v[30:31], v[30:31], v[38:39]
	v_pk_fma_f32 v[20:21], v[16:17], s[6:7], v[20:21] op_sel_hi:[1,0,1]
	v_pk_fma_f32 v[0:1], v[8:9], s[10:11], v[0:1] op_sel:[1,0,0] op_sel_hi:[0,0,1] neg_lo:[1,0,0] neg_hi:[1,0,0]
	v_pk_add_f32 v[24:25], v[34:35], v[30:31]
	v_pk_add_f32 v[34:35], v[0:1], v[20:21] neg_lo:[0,1] neg_hi:[0,1]
	v_pk_add_f32 v[0:1], v[0:1], v[20:21]
	s_mov_b32 s12, s13
	v_mov_b32_e32 v35, v1
	v_pk_add_f32 v[30:31], v[22:23], v[24:25]
	v_pk_fma_f32 v[0:1], v[20:21], 2.0, v[34:35] op_sel_hi:[1,0,1]
	v_pk_fma_f32 v[24:25], v[20:21], 2.0, v[34:35] op_sel_hi:[1,0,1] neg_lo:[1,0,0] neg_hi:[1,0,0]
	v_pk_mul_f32 v[20:21], v[14:15], s[12:13] op_sel_hi:[1,0]
	s_mov_b32 s14, 0xbf248dbb
	v_pk_fma_f32 v[20:21], v[16:17], s[14:15], v[20:21] op_sel:[0,0,1] op_sel_hi:[1,0,0]
	v_pk_mul_f32 v[38:39], v[10:11], s[6:7] op_sel_hi:[1,0]
	v_pk_add_f32 v[20:21], v[20:21], v[32:33] op_sel:[0,1] op_sel_hi:[1,0] neg_lo:[0,1] neg_hi:[0,1]
	ds_write2_b64 v59, v[30:31], v[34:35] offset1:11
	v_pk_add_f32 v[20:21], v[38:39], v[20:21] op_sel:[1,0] op_sel_hi:[0,1]
	v_pk_fma_f32 v[38:39], v[8:9], s[2:3], v[22:23] op_sel:[1,0,0] op_sel_hi:[0,0,1]
	v_pk_fma_f32 v[38:39], v[6:7], s[8:9], v[38:39] op_sel_hi:[1,0,1]
	v_pk_add_f32 v[34:35], v[16:17], v[14:15] op_sel:[0,1] op_sel_hi:[1,0]
	v_pk_fma_f32 v[38:39], v[18:19], 0.5, v[38:39] op_sel_hi:[1,0,1] neg_lo:[1,0,0] neg_hi:[1,0,0]
	v_pk_add_f32 v[30:31], v[18:19], v[22:23]
	v_pk_fma_f32 v[38:39], v[12:13], s[10:11], v[38:39] op_sel_hi:[1,0,1] neg_lo:[1,0,0] neg_hi:[1,0,0]
	v_pk_fma_f32 v[12:13], v[12:13], s[2:3], v[22:23] op_sel_hi:[1,0,1]
	v_pk_add_f32 v[40:41], v[38:39], v[20:21] neg_lo:[0,1] neg_hi:[0,1]
	v_pk_add_f32 v[38:39], v[38:39], v[20:21]
	v_pk_add_f32 v[34:35], v[34:35], v[10:11] op_sel:[0,1] op_sel_hi:[1,0] neg_lo:[0,1] neg_hi:[0,1]
	v_fma_f32 v38, 2.0, v20, v40
	v_mov_b32_e32 v41, v39
	v_fmac_f32_e32 v39, -2.0, v21
	v_pk_add_f32 v[20:21], v[8:9], v[36:37] op_sel:[1,0] op_sel_hi:[0,1]
	v_pk_fma_f32 v[8:9], v[8:9], s[8:9], v[12:13] op_sel:[1,0,0] op_sel_hi:[0,0,1]
	v_pk_fma_f32 v[8:9], v[18:19], 0.5, v[8:9] op_sel_hi:[1,0,1] neg_lo:[1,0,0] neg_hi:[1,0,0]
	v_pk_fma_f32 v[20:21], v[20:21], 0.5, v[30:31] op_sel_hi:[1,0,1] neg_lo:[1,0,0] neg_hi:[1,0,0]
	v_pk_fma_f32 v[6:7], v[6:7], s[10:11], v[8:9] op_sel_hi:[1,0,1] neg_lo:[1,0,0] neg_hi:[1,0,0]
	v_pk_mul_f32 v[8:9], v[10:11], s[14:15] op_sel_hi:[1,0]
	v_pk_mul_f32 v[10:11], v[14:15], s[6:7] op_sel_hi:[1,0]
	v_pk_fma_f32 v[8:9], v[16:17], s[12:13], v[8:9] op_sel:[0,0,1] op_sel_hi:[1,0,0] neg_lo:[1,0,0] neg_hi:[1,0,0]
	v_pk_mul_f32 v[36:37], v[34:35], s[0:1] op_sel_hi:[1,0]
	v_pk_add_f32 v[8:9], v[32:33], v[8:9] op_sel:[1,0] op_sel_hi:[0,1]
	v_pk_add_f32 v[8:9], v[10:11], v[8:9] op_sel:[1,0] op_sel_hi:[0,1]
	v_pk_fma_f32 v[30:31], v[34:35], s[0:1], v[20:21] op_sel_hi:[1,0,1] neg_lo:[1,0,0] neg_hi:[1,0,0]
	v_pk_fma_f32 v[20:21], v[34:35], s[0:1], v[20:21] op_sel_hi:[1,0,1]
	v_pk_add_f32 v[10:11], v[6:7], v[8:9] neg_lo:[0,1] neg_hi:[0,1]
	v_pk_add_f32 v[6:7], v[6:7], v[8:9]
	v_fma_f32 v20, 2.0, v36, v30
	v_mov_b32_e32 v31, v21
	v_fmac_f32_e32 v21, -2.0, v37
	v_fma_f32 v6, 2.0, v8, v10
	v_mov_b32_e32 v11, v7
	v_fmac_f32_e32 v7, -2.0, v9
	v_mov_b32_e32 v1, v25
	ds_write2_b64 v59, v[40:41], v[30:31] offset0:22 offset1:33
	ds_write2_b64 v59, v[10:11], v[6:7] offset0:44 offset1:55
	;; [unrolled: 1-line block ×3, first 2 shown]
	ds_write_b64 v59, v[0:1] offset:704
	s_waitcnt lgkmcnt(0)
	; wave barrier
	s_waitcnt lgkmcnt(0)
	ds_read2_b64 v[8:11], v100 offset1:44
	ds_read2_b64 v[12:15], v100 offset0:99 offset1:143
	ds_read2_b64 v[16:19], v100 offset0:198 offset1:242
	;; [unrolled: 1-line block ×3, first 2 shown]
	v_cmp_gt_u32_e64 s[0:1], 11, v28
	s_and_saveexec_b64 s[2:3], s[0:1]
	s_cbranch_execz .LBB0_15
; %bb.14:
	ds_read2_b64 v[0:3], v100 offset0:88 offset1:187
	v_add_u32_e32 v4, 0x800, v100
	ds_read2_b64 v[4:7], v4 offset0:30 offset1:129
	s_waitcnt lgkmcnt(1)
	v_mov_b32_e32 v25, v1
.LBB0_15:
	s_or_b64 exec, exec, s[2:3]
	v_mul_u32_u24_e32 v1, 3, v28
	v_lshlrev_b32_e32 v1, 3, v1
	global_load_dwordx4 v[30:33], v1, s[4:5] offset:704
	global_load_dwordx2 v[38:39], v1, s[4:5] offset:720
	global_load_dwordx4 v[34:37], v1, s[4:5] offset:1760
	global_load_dwordx2 v[40:41], v1, s[4:5] offset:1776
	v_add_u32_e32 v24, 0x800, v100
	s_waitcnt lgkmcnt(0)
	; wave barrier
	s_waitcnt vmcnt(3) lgkmcnt(0)
	v_pk_mul_f32 v[42:43], v[30:31], v[12:13] op_sel:[0,1]
	v_pk_mul_f32 v[44:45], v[32:33], v[16:17] op_sel:[0,1]
	s_waitcnt vmcnt(2)
	v_pk_mul_f32 v[46:47], v[38:39], v[20:21] op_sel:[0,1]
	s_waitcnt vmcnt(1)
	v_pk_mul_f32 v[48:49], v[34:35], v[14:15] op_sel:[0,1]
	v_pk_mul_f32 v[50:51], v[36:37], v[18:19] op_sel:[0,1]
	s_waitcnt vmcnt(0)
	v_pk_mul_f32 v[52:53], v[40:41], v[22:23] op_sel:[0,1]
	v_pk_fma_f32 v[54:55], v[30:31], v[12:13], v[42:43] op_sel:[0,0,1] op_sel_hi:[1,1,0]
	v_pk_fma_f32 v[12:13], v[30:31], v[12:13], v[42:43] op_sel:[0,0,1] op_sel_hi:[1,0,0] neg_lo:[1,0,0] neg_hi:[1,0,0]
	v_pk_fma_f32 v[30:31], v[32:33], v[16:17], v[44:45] op_sel:[0,0,1] op_sel_hi:[1,1,0]
	v_pk_fma_f32 v[16:17], v[32:33], v[16:17], v[44:45] op_sel:[0,0,1] op_sel_hi:[1,0,0] neg_lo:[1,0,0] neg_hi:[1,0,0]
	;; [unrolled: 2-line block ×6, first 2 shown]
	v_mov_b32_e32 v55, v13
	v_mov_b32_e32 v31, v17
	;; [unrolled: 1-line block ×6, first 2 shown]
	v_pk_add_f32 v[12:13], v[8:9], v[30:31] neg_lo:[0,1] neg_hi:[0,1]
	v_pk_add_f32 v[14:15], v[54:55], v[32:33] neg_lo:[0,1] neg_hi:[0,1]
	;; [unrolled: 1-line block ×4, first 2 shown]
	v_pk_fma_f32 v[8:9], v[8:9], 2.0, v[12:13] op_sel_hi:[1,0,1] neg_lo:[0,0,1] neg_hi:[0,0,1]
	v_pk_fma_f32 v[20:21], v[54:55], 2.0, v[14:15] op_sel_hi:[1,0,1] neg_lo:[0,0,1] neg_hi:[0,0,1]
	;; [unrolled: 1-line block ×4, first 2 shown]
	v_pk_add_f32 v[30:31], v[12:13], v[14:15] op_sel:[0,1] op_sel_hi:[1,0]
	v_pk_add_f32 v[14:15], v[12:13], v[14:15] op_sel:[0,1] op_sel_hi:[1,0] neg_lo:[0,1] neg_hi:[0,1]
	v_pk_add_f32 v[32:33], v[16:17], v[18:19] op_sel:[0,1] op_sel_hi:[1,0]
	v_pk_add_f32 v[18:19], v[16:17], v[18:19] op_sel:[0,1] op_sel_hi:[1,0] neg_lo:[0,1] neg_hi:[0,1]
	v_pk_add_f32 v[20:21], v[8:9], v[20:21] neg_lo:[0,1] neg_hi:[0,1]
	v_pk_add_f32 v[22:23], v[10:11], v[22:23] neg_lo:[0,1] neg_hi:[0,1]
	v_mov_b32_e32 v31, v15
	v_mov_b32_e32 v33, v19
	v_pk_fma_f32 v[8:9], v[8:9], 2.0, v[20:21] op_sel_hi:[1,0,1] neg_lo:[0,0,1] neg_hi:[0,0,1]
	v_pk_fma_f32 v[10:11], v[10:11], 2.0, v[22:23] op_sel_hi:[1,0,1] neg_lo:[0,0,1] neg_hi:[0,0,1]
	;; [unrolled: 1-line block ×4, first 2 shown]
	ds_write2_b64 v100, v[20:21], v[22:23] offset0:198 offset1:242
	ds_write2_b64 v100, v[8:9], v[10:11] offset1:44
	ds_write2_b64 v100, v[12:13], v[14:15] offset0:99 offset1:143
	ds_write2_b64 v24, v[30:31], v[32:33] offset0:41 offset1:85
	s_and_saveexec_b64 s[2:3], s[0:1]
	s_cbranch_execz .LBB0_17
; %bb.16:
	v_add_u32_e32 v1, 0x58, v28
	v_add_u32_e32 v8, -11, v28
	v_cndmask_b32_e64 v1, v8, v1, s[0:1]
	v_mul_i32_i24_e32 v8, 3, v1
	v_mov_b32_e32 v9, 0
	v_lshl_add_u64 v[12:13], v[8:9], 3, s[4:5]
	global_load_dwordx4 v[8:11], v[12:13], off offset:704
	global_load_dwordx2 v[14:15], v[12:13], off offset:720
	v_mov_b32_e32 v12, v3
	v_mov_b32_e32 v16, v7
	;; [unrolled: 1-line block ×3, first 2 shown]
	s_waitcnt vmcnt(1)
	v_pk_mul_f32 v[18:19], v[4:5], v[10:11] op_sel:[1,0]
	v_pk_mul_f32 v[12:13], v[12:13], v[8:9] op_sel_hi:[0,1]
	s_waitcnt vmcnt(0)
	v_pk_mul_f32 v[16:17], v[16:17], v[14:15] op_sel_hi:[0,1]
	v_pk_fma_f32 v[20:21], v[4:5], v[10:11], v[18:19] op_sel:[0,0,1] op_sel_hi:[1,1,0]
	v_pk_fma_f32 v[4:5], v[4:5], v[10:11], v[18:19] op_sel:[0,0,1] op_sel_hi:[0,1,0] neg_lo:[1,0,0] neg_hi:[1,0,0]
	v_pk_fma_f32 v[10:11], v[2:3], v[8:9], v[12:13] op_sel:[0,0,1] op_sel_hi:[1,1,0]
	v_pk_fma_f32 v[2:3], v[2:3], v[8:9], v[12:13] op_sel:[0,0,1] op_sel_hi:[0,1,0] neg_lo:[1,0,0] neg_hi:[1,0,0]
	;; [unrolled: 2-line block ×3, first 2 shown]
	v_mov_b32_e32 v21, v5
	v_mov_b32_e32 v11, v3
	;; [unrolled: 1-line block ×3, first 2 shown]
	v_pk_add_f32 v[2:3], v[0:1], v[20:21] neg_lo:[0,1] neg_hi:[0,1]
	v_pk_add_f32 v[4:5], v[10:11], v[8:9] neg_lo:[0,1] neg_hi:[0,1]
	v_pk_fma_f32 v[0:1], v[0:1], 2.0, v[2:3] op_sel_hi:[1,0,1] neg_lo:[0,0,1] neg_hi:[0,0,1]
	v_pk_fma_f32 v[6:7], v[10:11], 2.0, v[4:5] op_sel_hi:[1,0,1] neg_lo:[0,0,1] neg_hi:[0,0,1]
	v_pk_add_f32 v[8:9], v[2:3], v[4:5] op_sel:[0,1] op_sel_hi:[1,0]
	v_pk_add_f32 v[4:5], v[2:3], v[4:5] op_sel:[0,1] op_sel_hi:[1,0] neg_lo:[0,1] neg_hi:[0,1]
	v_pk_add_f32 v[6:7], v[0:1], v[6:7] neg_lo:[0,1] neg_hi:[0,1]
	v_mov_b32_e32 v9, v5
	v_pk_fma_f32 v[0:1], v[0:1], 2.0, v[6:7] op_sel_hi:[1,0,1] neg_lo:[0,0,1] neg_hi:[0,0,1]
	v_pk_fma_f32 v[2:3], v[2:3], 2.0, v[8:9] op_sel_hi:[1,0,1] neg_lo:[0,0,1] neg_hi:[0,0,1]
	ds_write2_b64 v100, v[0:1], v[2:3] offset0:88 offset1:187
	ds_write2_b64 v24, v[6:7], v[8:9] offset0:30 offset1:129
.LBB0_17:
	s_or_b64 exec, exec, s[2:3]
	s_waitcnt lgkmcnt(0)
	; wave barrier
	s_waitcnt lgkmcnt(0)
	ds_read_b64 v[2:3], v100
	v_lshlrev_b32_e32 v0, 3, v28
	v_sub_u32_e32 v8, 0, v0
	v_cmp_ne_u32_e64 s[0:1], 0, v28
                                        ; implicit-def: $vgpr6_vgpr7
                                        ; implicit-def: $vgpr5
                                        ; implicit-def: $vgpr0_vgpr1
	s_and_saveexec_b64 s[2:3], s[0:1]
	s_xor_b64 s[0:1], exec, s[2:3]
	s_cbranch_execz .LBB0_19
; %bb.18:
	v_mov_b32_e32 v29, 0
	v_lshl_add_u64 v[0:1], v[28:29], 3, s[4:5]
	global_load_dwordx2 v[0:1], v[0:1], off offset:3080
	ds_read_b64 v[4:5], v8 offset:3168
	v_mov_b32_e32 v7, 0.5
	v_mov_b32_e32 v10, v7
	s_waitcnt lgkmcnt(0)
	v_pk_add_f32 v[12:13], v[4:5], v[2:3]
	v_pk_add_f32 v[2:3], v[2:3], v[4:5] neg_lo:[0,1] neg_hi:[0,1]
	v_mov_b32_e32 v4, v13
	v_mov_b32_e32 v5, v2
	v_pk_mul_f32 v[14:15], v[4:5], 0.5 op_sel_hi:[1,0]
	s_waitcnt vmcnt(0)
	v_mov_b32_e32 v6, v1
	v_mov_b32_e32 v2, v15
	v_mov_b32_e32 v13, v14
	v_mov_b32_e32 v11, v1
	v_pk_mul_f32 v[2:3], v[6:7], v[2:3]
	v_pk_mul_f32 v[4:5], v[0:1], v[14:15] op_sel_hi:[0,1]
	v_pk_fma_f32 v[6:7], v[12:13], v[10:11], v[2:3]
	v_pk_fma_f32 v[2:3], v[12:13], v[10:11], v[2:3] neg_lo:[0,0,1] neg_hi:[0,0,1]
	v_add_f32_e32 v4, v4, v6
	v_sub_f32_e32 v5, v7, v5
	v_pk_fma_f32 v[6:7], v[0:1], v[14:15], v[2:3] op_sel_hi:[0,1,1] neg_lo:[1,0,0] neg_hi:[1,0,0]
	ds_write_b32 v100, v4
	v_mov_b64_e32 v[0:1], v[28:29]
                                        ; implicit-def: $vgpr2_vgpr3
.LBB0_19:
	s_andn2_saveexec_b64 s[0:1], s[0:1]
	s_cbranch_execz .LBB0_21
; %bb.20:
	s_waitcnt lgkmcnt(0)
	v_mov_b32_e32 v0, v3
	v_pk_add_f32 v[4:5], v[2:3], v[0:1] neg_lo:[0,1] neg_hi:[0,1]
	v_add_f32_e32 v2, v3, v2
	v_mov_b32_e32 v5, 0
	ds_read_b32 v6, v5 offset:1588
	v_mov_b64_e32 v[0:1], 0
	ds_write_b32 v100, v2
	s_waitcnt lgkmcnt(1)
	v_xor_b32_e32 v2, 0x80000000, v6
	v_mov_b64_e32 v[6:7], v[4:5]
	ds_write_b32 v5, v2 offset:1588
.LBB0_21:
	s_or_b64 exec, exec, s[0:1]
	s_add_u32 s0, s4, 0xc08
	s_addc_u32 s1, s5, 0
	s_waitcnt lgkmcnt(0)
	v_lshl_add_u64 v[2:3], v[0:1], 3, s[0:1]
	global_load_dwordx2 v[10:11], v[2:3], off offset:352
	global_load_dwordx2 v[12:13], v[2:3], off offset:704
	;; [unrolled: 1-line block ×3, first 2 shown]
	ds_write_b32 v100, v5 offset:4
	ds_write_b64 v8, v[6:7] offset:3168
	ds_read_b64 v[6:7], v100 offset:352
	ds_read_b64 v[16:17], v8 offset:2816
	v_mov_b32_e32 v5, 0.5
	v_mov_b32_e32 v18, v5
	v_cmp_gt_u32_e64 s[0:1], 22, v28
	s_waitcnt lgkmcnt(0)
	v_pk_add_f32 v[20:21], v[6:7], v[16:17]
	v_pk_add_f32 v[6:7], v[6:7], v[16:17] neg_lo:[0,1] neg_hi:[0,1]
	v_mov_b32_e32 v16, v21
	v_mov_b32_e32 v17, v6
	v_pk_mul_f32 v[16:17], v[16:17], 0.5 op_sel_hi:[1,0]
	s_waitcnt vmcnt(2)
	v_mov_b32_e32 v4, v11
	v_mov_b32_e32 v6, v17
	;; [unrolled: 1-line block ×4, first 2 shown]
	v_pk_mul_f32 v[6:7], v[4:5], v[6:7]
	s_waitcnt vmcnt(1)
	v_mov_b32_e32 v4, v13
	v_pk_fma_f32 v[22:23], v[20:21], v[18:19], v[6:7]
	v_pk_fma_f32 v[6:7], v[20:21], v[18:19], v[6:7] neg_lo:[0,0,1] neg_hi:[0,0,1]
	v_pk_fma_f32 v[18:19], v[10:11], v[16:17], v[22:23]
	v_pk_fma_f32 v[20:21], v[10:11], v[16:17], v[22:23] op_sel_hi:[0,1,1] neg_lo:[1,0,0] neg_hi:[1,0,0]
	v_mov_b32_e32 v19, v21
	v_pk_fma_f32 v[6:7], v[10:11], v[16:17], v[6:7] op_sel_hi:[0,1,1] neg_lo:[1,0,0] neg_hi:[1,0,0]
	ds_write_b64 v100, v[18:19] offset:352
	ds_write_b64 v8, v[6:7] offset:2816
	ds_read_b64 v[6:7], v100 offset:704
	ds_read_b64 v[10:11], v8 offset:2464
	v_mov_b32_e32 v16, v5
	v_mov_b32_e32 v17, v13
	s_waitcnt lgkmcnt(0)
	v_pk_add_f32 v[18:19], v[6:7], v[10:11]
	v_pk_add_f32 v[6:7], v[6:7], v[10:11] neg_lo:[0,1] neg_hi:[0,1]
	v_mov_b32_e32 v10, v19
	v_mov_b32_e32 v11, v6
	v_pk_mul_f32 v[10:11], v[10:11], 0.5 op_sel_hi:[1,0]
	s_nop 0
	v_mov_b32_e32 v6, v11
	v_mov_b32_e32 v19, v10
	v_pk_mul_f32 v[6:7], v[4:5], v[6:7]
	s_waitcnt vmcnt(0)
	v_mov_b32_e32 v4, v15
	v_pk_fma_f32 v[20:21], v[18:19], v[16:17], v[6:7]
	v_pk_fma_f32 v[6:7], v[18:19], v[16:17], v[6:7] neg_lo:[0,0,1] neg_hi:[0,0,1]
	v_pk_fma_f32 v[16:17], v[12:13], v[10:11], v[20:21]
	v_pk_fma_f32 v[18:19], v[12:13], v[10:11], v[20:21] op_sel_hi:[0,1,1] neg_lo:[1,0,0] neg_hi:[1,0,0]
	v_mov_b32_e32 v17, v19
	v_pk_fma_f32 v[6:7], v[12:13], v[10:11], v[6:7] op_sel_hi:[0,1,1] neg_lo:[1,0,0] neg_hi:[1,0,0]
	ds_write_b64 v100, v[16:17] offset:704
	ds_write_b64 v8, v[6:7] offset:2464
	ds_read_b64 v[6:7], v100 offset:1056
	ds_read_b64 v[10:11], v8 offset:2112
	v_mov_b32_e32 v12, v5
	v_mov_b32_e32 v13, v15
	s_waitcnt lgkmcnt(0)
	v_pk_add_f32 v[16:17], v[6:7], v[10:11]
	v_pk_add_f32 v[6:7], v[6:7], v[10:11] neg_lo:[0,1] neg_hi:[0,1]
	v_mov_b32_e32 v10, v17
	v_mov_b32_e32 v11, v6
	v_pk_mul_f32 v[10:11], v[10:11], 0.5 op_sel_hi:[1,0]
	s_nop 0
	v_mov_b32_e32 v6, v11
	v_mov_b32_e32 v17, v10
	v_pk_mul_f32 v[6:7], v[4:5], v[6:7]
	s_nop 0
	v_pk_fma_f32 v[18:19], v[16:17], v[12:13], v[6:7]
	v_pk_fma_f32 v[6:7], v[16:17], v[12:13], v[6:7] neg_lo:[0,0,1] neg_hi:[0,0,1]
	v_pk_fma_f32 v[12:13], v[14:15], v[10:11], v[18:19]
	v_pk_fma_f32 v[16:17], v[14:15], v[10:11], v[18:19] op_sel_hi:[0,1,1] neg_lo:[1,0,0] neg_hi:[1,0,0]
	v_mov_b32_e32 v13, v17
	v_pk_fma_f32 v[6:7], v[14:15], v[10:11], v[6:7] op_sel_hi:[0,1,1] neg_lo:[1,0,0] neg_hi:[1,0,0]
	ds_write_b64 v100, v[12:13] offset:1056
	ds_write_b64 v8, v[6:7] offset:2112
	s_and_saveexec_b64 s[2:3], s[0:1]
	s_cbranch_execz .LBB0_23
; %bb.22:
	global_load_dwordx2 v[2:3], v[2:3], off offset:1408
	ds_read_b64 v[6:7], v100 offset:1408
	ds_read_b64 v[10:11], v8 offset:1760
	v_mov_b32_e32 v12, v5
	s_waitcnt lgkmcnt(0)
	v_pk_add_f32 v[14:15], v[6:7], v[10:11]
	v_pk_add_f32 v[6:7], v[6:7], v[10:11] neg_lo:[0,1] neg_hi:[0,1]
	v_mov_b32_e32 v10, v15
	v_mov_b32_e32 v11, v6
	v_pk_mul_f32 v[10:11], v[10:11], 0.5 op_sel_hi:[1,0]
	s_waitcnt vmcnt(0)
	v_mov_b32_e32 v4, v3
	v_mov_b32_e32 v6, v11
	;; [unrolled: 1-line block ×4, first 2 shown]
	v_pk_mul_f32 v[4:5], v[4:5], v[6:7]
	s_nop 0
	v_pk_fma_f32 v[6:7], v[14:15], v[12:13], v[4:5]
	v_pk_fma_f32 v[4:5], v[14:15], v[12:13], v[4:5] neg_lo:[0,0,1] neg_hi:[0,0,1]
	v_pk_fma_f32 v[12:13], v[2:3], v[10:11], v[6:7]
	v_pk_fma_f32 v[6:7], v[2:3], v[10:11], v[6:7] op_sel_hi:[0,1,1] neg_lo:[1,0,0] neg_hi:[1,0,0]
	v_mov_b32_e32 v13, v7
	v_pk_fma_f32 v[2:3], v[2:3], v[10:11], v[4:5] op_sel_hi:[0,1,1] neg_lo:[1,0,0] neg_hi:[1,0,0]
	ds_write_b64 v100, v[12:13] offset:1408
	ds_write_b64 v8, v[2:3] offset:1760
.LBB0_23:
	s_or_b64 exec, exec, s[2:3]
	s_waitcnt lgkmcnt(0)
	; wave barrier
	s_waitcnt lgkmcnt(0)
	s_and_saveexec_b64 s[0:1], vcc
	s_cbranch_execz .LBB0_26
; %bb.24:
	ds_read2_b64 v[2:5], v100 offset1:44
	ds_read2_b64 v[6:9], v100 offset0:88 offset1:132
	v_lshl_add_u64 v[10:11], v[0:1], 3, v[26:27]
	v_cmp_eq_u32_e32 vcc, 43, v28
	s_waitcnt lgkmcnt(1)
	global_store_dwordx2 v[10:11], v[2:3], off
	global_store_dwordx2 v[10:11], v[4:5], off offset:352
	s_waitcnt lgkmcnt(0)
	global_store_dwordx2 v[10:11], v[6:7], off offset:704
	ds_read2_b64 v[0:3], v100 offset0:176 offset1:220
	v_add_u32_e32 v4, 0x800, v100
	ds_read2_b64 v[4:7], v4 offset0:8 offset1:52
	global_store_dwordx2 v[10:11], v[8:9], off offset:1056
	ds_read_b64 v[8:9], v100 offset:2816
	s_waitcnt lgkmcnt(2)
	global_store_dwordx2 v[10:11], v[0:1], off offset:1408
	global_store_dwordx2 v[10:11], v[2:3], off offset:1760
	s_waitcnt lgkmcnt(1)
	global_store_dwordx2 v[10:11], v[4:5], off offset:2112
	global_store_dwordx2 v[10:11], v[6:7], off offset:2464
	s_waitcnt lgkmcnt(0)
	global_store_dwordx2 v[10:11], v[8:9], off offset:2816
	s_and_b64 exec, exec, vcc
	s_cbranch_execz .LBB0_26
; %bb.25:
	v_mov_b32_e32 v0, 0
	ds_read_b64 v[0:1], v0 offset:3168
	s_waitcnt lgkmcnt(0)
	global_store_dwordx2 v[26:27], v[0:1], off offset:3168
.LBB0_26:
	s_endpgm
	.section	.rodata,"a",@progbits
	.p2align	6, 0x0
	.amdhsa_kernel fft_rtc_back_len396_factors_11_9_4_wgs_44_tpt_44_sp_ip_CI_unitstride_sbrr_R2C_dirReg
		.amdhsa_group_segment_fixed_size 0
		.amdhsa_private_segment_fixed_size 0
		.amdhsa_kernarg_size 88
		.amdhsa_user_sgpr_count 2
		.amdhsa_user_sgpr_dispatch_ptr 0
		.amdhsa_user_sgpr_queue_ptr 0
		.amdhsa_user_sgpr_kernarg_segment_ptr 1
		.amdhsa_user_sgpr_dispatch_id 0
		.amdhsa_user_sgpr_kernarg_preload_length 0
		.amdhsa_user_sgpr_kernarg_preload_offset 0
		.amdhsa_user_sgpr_private_segment_size 0
		.amdhsa_uses_dynamic_stack 0
		.amdhsa_enable_private_segment 0
		.amdhsa_system_sgpr_workgroup_id_x 1
		.amdhsa_system_sgpr_workgroup_id_y 0
		.amdhsa_system_sgpr_workgroup_id_z 0
		.amdhsa_system_sgpr_workgroup_info 0
		.amdhsa_system_vgpr_workitem_id 0
		.amdhsa_next_free_vgpr 104
		.amdhsa_next_free_sgpr 24
		.amdhsa_accum_offset 104
		.amdhsa_reserve_vcc 1
		.amdhsa_float_round_mode_32 0
		.amdhsa_float_round_mode_16_64 0
		.amdhsa_float_denorm_mode_32 3
		.amdhsa_float_denorm_mode_16_64 3
		.amdhsa_dx10_clamp 1
		.amdhsa_ieee_mode 1
		.amdhsa_fp16_overflow 0
		.amdhsa_tg_split 0
		.amdhsa_exception_fp_ieee_invalid_op 0
		.amdhsa_exception_fp_denorm_src 0
		.amdhsa_exception_fp_ieee_div_zero 0
		.amdhsa_exception_fp_ieee_overflow 0
		.amdhsa_exception_fp_ieee_underflow 0
		.amdhsa_exception_fp_ieee_inexact 0
		.amdhsa_exception_int_div_zero 0
	.end_amdhsa_kernel
	.text
.Lfunc_end0:
	.size	fft_rtc_back_len396_factors_11_9_4_wgs_44_tpt_44_sp_ip_CI_unitstride_sbrr_R2C_dirReg, .Lfunc_end0-fft_rtc_back_len396_factors_11_9_4_wgs_44_tpt_44_sp_ip_CI_unitstride_sbrr_R2C_dirReg
                                        ; -- End function
	.section	.AMDGPU.csdata,"",@progbits
; Kernel info:
; codeLenInByte = 6416
; NumSgprs: 30
; NumVgprs: 104
; NumAgprs: 0
; TotalNumVgprs: 104
; ScratchSize: 0
; MemoryBound: 0
; FloatMode: 240
; IeeeMode: 1
; LDSByteSize: 0 bytes/workgroup (compile time only)
; SGPRBlocks: 3
; VGPRBlocks: 12
; NumSGPRsForWavesPerEU: 30
; NumVGPRsForWavesPerEU: 104
; AccumOffset: 104
; Occupancy: 4
; WaveLimiterHint : 1
; COMPUTE_PGM_RSRC2:SCRATCH_EN: 0
; COMPUTE_PGM_RSRC2:USER_SGPR: 2
; COMPUTE_PGM_RSRC2:TRAP_HANDLER: 0
; COMPUTE_PGM_RSRC2:TGID_X_EN: 1
; COMPUTE_PGM_RSRC2:TGID_Y_EN: 0
; COMPUTE_PGM_RSRC2:TGID_Z_EN: 0
; COMPUTE_PGM_RSRC2:TIDIG_COMP_CNT: 0
; COMPUTE_PGM_RSRC3_GFX90A:ACCUM_OFFSET: 25
; COMPUTE_PGM_RSRC3_GFX90A:TG_SPLIT: 0
	.text
	.p2alignl 6, 3212836864
	.fill 256, 4, 3212836864
	.type	__hip_cuid_1bd39b7d8d2a3133,@object ; @__hip_cuid_1bd39b7d8d2a3133
	.section	.bss,"aw",@nobits
	.globl	__hip_cuid_1bd39b7d8d2a3133
__hip_cuid_1bd39b7d8d2a3133:
	.byte	0                               ; 0x0
	.size	__hip_cuid_1bd39b7d8d2a3133, 1

	.ident	"AMD clang version 19.0.0git (https://github.com/RadeonOpenCompute/llvm-project roc-6.4.0 25133 c7fe45cf4b819c5991fe208aaa96edf142730f1d)"
	.section	".note.GNU-stack","",@progbits
	.addrsig
	.addrsig_sym __hip_cuid_1bd39b7d8d2a3133
	.amdgpu_metadata
---
amdhsa.kernels:
  - .agpr_count:     0
    .args:
      - .actual_access:  read_only
        .address_space:  global
        .offset:         0
        .size:           8
        .value_kind:     global_buffer
      - .offset:         8
        .size:           8
        .value_kind:     by_value
      - .actual_access:  read_only
        .address_space:  global
        .offset:         16
        .size:           8
        .value_kind:     global_buffer
      - .actual_access:  read_only
        .address_space:  global
        .offset:         24
        .size:           8
        .value_kind:     global_buffer
      - .offset:         32
        .size:           8
        .value_kind:     by_value
      - .actual_access:  read_only
        .address_space:  global
        .offset:         40
        .size:           8
        .value_kind:     global_buffer
      - .actual_access:  read_only
        .address_space:  global
        .offset:         48
        .size:           8
        .value_kind:     global_buffer
      - .offset:         56
        .size:           4
        .value_kind:     by_value
      - .actual_access:  read_only
        .address_space:  global
        .offset:         64
        .size:           8
        .value_kind:     global_buffer
      - .actual_access:  read_only
        .address_space:  global
        .offset:         72
        .size:           8
        .value_kind:     global_buffer
      - .address_space:  global
        .offset:         80
        .size:           8
        .value_kind:     global_buffer
    .group_segment_fixed_size: 0
    .kernarg_segment_align: 8
    .kernarg_segment_size: 88
    .language:       OpenCL C
    .language_version:
      - 2
      - 0
    .max_flat_workgroup_size: 44
    .name:           fft_rtc_back_len396_factors_11_9_4_wgs_44_tpt_44_sp_ip_CI_unitstride_sbrr_R2C_dirReg
    .private_segment_fixed_size: 0
    .sgpr_count:     30
    .sgpr_spill_count: 0
    .symbol:         fft_rtc_back_len396_factors_11_9_4_wgs_44_tpt_44_sp_ip_CI_unitstride_sbrr_R2C_dirReg.kd
    .uniform_work_group_size: 1
    .uses_dynamic_stack: false
    .vgpr_count:     104
    .vgpr_spill_count: 0
    .wavefront_size: 64
amdhsa.target:   amdgcn-amd-amdhsa--gfx950
amdhsa.version:
  - 1
  - 2
...

	.end_amdgpu_metadata
